;; amdgpu-corpus repo=ROCm/rocFFT kind=compiled arch=gfx1100 opt=O3
	.text
	.amdgcn_target "amdgcn-amd-amdhsa--gfx1100"
	.amdhsa_code_object_version 6
	.protected	fft_rtc_fwd_len200_factors_2_5_10_2_wgs_200_tpt_20_dim2_sp_ip_CI_sbcc_twdbase8_3step_dirReg_intrinsicReadWrite ; -- Begin function fft_rtc_fwd_len200_factors_2_5_10_2_wgs_200_tpt_20_dim2_sp_ip_CI_sbcc_twdbase8_3step_dirReg_intrinsicReadWrite
	.globl	fft_rtc_fwd_len200_factors_2_5_10_2_wgs_200_tpt_20_dim2_sp_ip_CI_sbcc_twdbase8_3step_dirReg_intrinsicReadWrite
	.p2align	8
	.type	fft_rtc_fwd_len200_factors_2_5_10_2_wgs_200_tpt_20_dim2_sp_ip_CI_sbcc_twdbase8_3step_dirReg_intrinsicReadWrite,@function
fft_rtc_fwd_len200_factors_2_5_10_2_wgs_200_tpt_20_dim2_sp_ip_CI_sbcc_twdbase8_3step_dirReg_intrinsicReadWrite: ; @fft_rtc_fwd_len200_factors_2_5_10_2_wgs_200_tpt_20_dim2_sp_ip_CI_sbcc_twdbase8_3step_dirReg_intrinsicReadWrite
; %bb.0:
	s_load_b128 s[4:7], s[0:1], 0x10
	s_mov_b32 s10, s15
	s_waitcnt lgkmcnt(0)
	s_load_b64 s[8:9], s[4:5], 0x8
	s_waitcnt lgkmcnt(0)
	s_add_u32 s2, s8, -1
	s_addc_u32 s3, s9, -1
	s_add_u32 s4, 0, 0x99986000
	s_addc_u32 s5, 0, 0x59
	s_mul_hi_u32 s12, s4, -10
	s_add_i32 s5, s5, 0x19999940
	s_sub_i32 s12, s12, s4
	s_mul_i32 s14, s5, -10
	s_mul_i32 s11, s4, -10
	s_add_i32 s12, s12, s14
	s_mul_hi_u32 s13, s4, s11
	s_mul_i32 s16, s4, s12
	s_mul_hi_u32 s14, s4, s12
	s_mul_hi_u32 s15, s5, s11
	s_mul_i32 s11, s5, s11
	s_add_u32 s13, s13, s16
	s_addc_u32 s14, 0, s14
	s_mul_hi_u32 s17, s5, s12
	s_add_u32 s11, s13, s11
	s_mul_i32 s12, s5, s12
	s_addc_u32 s11, s14, s15
	s_addc_u32 s13, s17, 0
	s_add_u32 s11, s11, s12
	s_delay_alu instid0(SALU_CYCLE_1) | instskip(SKIP_3) | instid1(VALU_DEP_1)
	v_add_co_u32 v1, s4, s4, s11
	s_addc_u32 s11, 0, s13
	s_cmp_lg_u32 s4, 0
	s_addc_u32 s4, s5, s11
	v_readfirstlane_b32 s5, v1
	s_mul_i32 s12, s2, s4
	s_mul_hi_u32 s11, s2, s4
	s_mul_hi_u32 s13, s3, s4
	s_mul_i32 s4, s3, s4
	s_mul_hi_u32 s14, s2, s5
	s_mul_hi_u32 s15, s3, s5
	s_mul_i32 s5, s3, s5
	s_add_u32 s12, s14, s12
	s_addc_u32 s11, 0, s11
	s_add_u32 s5, s12, s5
	s_addc_u32 s5, s11, s15
	s_addc_u32 s11, s13, 0
	s_add_u32 s12, s5, s4
	s_addc_u32 s13, 0, s11
	s_mul_i32 s5, s12, 10
	s_add_u32 s4, s12, 1
	v_sub_co_u32 v1, s2, s2, s5
	s_mul_hi_u32 s5, s12, 10
	s_addc_u32 s11, s13, 0
	s_mul_i32 s14, s13, 10
	s_delay_alu instid0(VALU_DEP_1)
	v_sub_co_u32 v2, s15, v1, 10
	s_add_u32 s16, s12, 2
	s_addc_u32 s17, s13, 0
	s_add_i32 s5, s5, s14
	s_cmp_lg_u32 s2, 0
	v_readfirstlane_b32 s2, v2
	s_subb_u32 s5, s3, s5
	s_cmp_lg_u32 s15, 0
	s_subb_u32 s3, s5, 0
	s_delay_alu instid0(VALU_DEP_1) | instskip(SKIP_4) | instid1(SALU_CYCLE_1)
	s_cmp_gt_u32 s2, 9
	s_cselect_b32 s2, -1, 0
	s_cmp_eq_u32 s3, 0
	v_readfirstlane_b32 s3, v1
	s_cselect_b32 s2, s2, -1
	s_cmp_lg_u32 s2, 0
	s_cselect_b32 s14, s16, s4
	s_cselect_b32 s15, s17, s11
	s_cmp_gt_u32 s3, 9
	s_load_b64 s[2:3], s[0:1], 0x50
	s_cselect_b32 s11, -1, 0
	s_cmp_eq_u32 s5, 0
	s_load_b64 s[4:5], s[6:7], 0x0
	s_waitcnt lgkmcnt(0)
	s_cselect_b32 s5, s11, -1
	s_mov_b32 s11, 0
	s_cmp_lg_u32 s5, 0
	s_cselect_b32 s5, s14, s12
	s_cselect_b32 s13, s15, s13
	s_add_u32 s12, s5, 1
	s_addc_u32 s13, s13, 0
	s_mov_b64 s[14:15], 0
	v_cmp_lt_u64_e64 s5, s[10:11], s[12:13]
	s_delay_alu instid0(VALU_DEP_1)
	s_and_b32 vcc_lo, exec_lo, s5
	s_cbranch_vccnz .LBB0_2
; %bb.1:
	v_cvt_f32_u32_e32 v1, s12
	s_sub_i32 s11, 0, s12
	s_delay_alu instid0(VALU_DEP_1) | instskip(SKIP_2) | instid1(VALU_DEP_1)
	v_rcp_iflag_f32_e32 v1, v1
	s_waitcnt_depctr 0xfff
	v_mul_f32_e32 v1, 0x4f7ffffe, v1
	v_cvt_u32_f32_e32 v1, v1
	s_delay_alu instid0(VALU_DEP_1) | instskip(NEXT) | instid1(VALU_DEP_1)
	v_readfirstlane_b32 s5, v1
	s_mul_i32 s11, s11, s5
	s_delay_alu instid0(SALU_CYCLE_1) | instskip(NEXT) | instid1(SALU_CYCLE_1)
	s_mul_hi_u32 s11, s5, s11
	s_add_i32 s5, s5, s11
	s_delay_alu instid0(SALU_CYCLE_1) | instskip(NEXT) | instid1(SALU_CYCLE_1)
	s_mul_hi_u32 s5, s10, s5
	s_mul_i32 s11, s5, s12
	s_add_i32 s14, s5, 1
	s_sub_i32 s11, s10, s11
	s_delay_alu instid0(SALU_CYCLE_1)
	s_sub_i32 s15, s11, s12
	s_cmp_ge_u32 s11, s12
	s_cselect_b32 s5, s14, s5
	s_cselect_b32 s11, s15, s11
	s_add_i32 s14, s5, 1
	s_cmp_ge_u32 s11, s12
	s_cselect_b32 s14, s14, s5
.LBB0_2:
	v_mul_u32_u24_e32 v1, 0x199a, v0
	s_load_b128 s[16:19], s[6:7], 0x8
	s_mul_i32 s5, s14, s13
	s_mul_hi_u32 s6, s14, s12
	s_mul_i32 s7, s14, s12
	v_lshrrev_b32_e32 v27, 16, v1
	s_add_i32 s6, s6, s5
	s_sub_u32 s5, s10, s7
	s_subb_u32 s6, 0, s6
	s_mul_i32 s10, s5, 10
	v_mul_lo_u16 v1, v27, 10
	s_mul_hi_u32 s7, s5, 10
	s_mul_i32 s6, s6, 10
	v_mov_b32_e32 v7, 0
	s_add_i32 s7, s7, s6
	v_sub_nc_u16 v1, v0, v1
	s_delay_alu instid0(VALU_DEP_1) | instskip(SKIP_3) | instid1(SALU_CYCLE_1)
	v_and_b32_e32 v28, 0xffff, v1
	s_waitcnt lgkmcnt(0)
	s_mul_i32 s5, s10, s16
	s_mul_i32 s11, s18, s14
	s_add_u32 s5, s11, s5
	s_add_u32 s6, s10, 10
	v_add_co_u32 v3, s10, s10, v28
	v_mad_u64_u32 v[1:2], null, s16, v28, 0
	v_add_co_ci_u32_e64 v4, null, s7, 0, s10
	s_addc_u32 s7, s7, 0
	s_delay_alu instid0(SALU_CYCLE_1) | instskip(NEXT) | instid1(VALU_DEP_2)
	v_cmp_le_u64_e64 s6, s[6:7], s[8:9]
	v_cmp_gt_u64_e32 vcc_lo, s[8:9], v[3:4]
	s_delay_alu instid0(VALU_DEP_4) | instskip(SKIP_1) | instid1(VALU_DEP_4)
	v_mad_u64_u32 v[5:6], null, s17, v28, v[2:3]
	v_dual_mov_b32 v5, 0 :: v_dual_mov_b32 v4, 0
	s_or_b32 s8, s6, vcc_lo
	s_delay_alu instid0(SALU_CYCLE_1)
	s_and_saveexec_b32 s6, s8
	s_cbranch_execz .LBB0_4
; %bb.3:
	v_mul_lo_u32 v2, s4, v27
	v_mov_b32_e32 v5, 0
	s_delay_alu instid0(VALU_DEP_2) | instskip(NEXT) | instid1(VALU_DEP_1)
	v_add3_u32 v4, s5, v1, v2
	v_lshlrev_b64 v[4:5], 3, v[4:5]
	s_delay_alu instid0(VALU_DEP_1) | instskip(NEXT) | instid1(VALU_DEP_2)
	v_add_co_u32 v4, vcc_lo, s2, v4
	v_add_co_ci_u32_e32 v5, vcc_lo, s3, v5, vcc_lo
	global_load_b64 v[4:5], v[4:5], off
.LBB0_4:
	s_or_b32 exec_lo, exec_lo, s6
	v_mov_b32_e32 v6, 0
	s_and_saveexec_b32 s6, s8
	s_cbranch_execz .LBB0_6
; %bb.5:
	v_dual_mov_b32 v7, 0 :: v_dual_add_nc_u32 v2, 0x64, v27
	s_delay_alu instid0(VALU_DEP_1) | instskip(NEXT) | instid1(VALU_DEP_1)
	v_mul_lo_u32 v2, s4, v2
	v_add3_u32 v6, s5, v1, v2
	s_delay_alu instid0(VALU_DEP_1) | instskip(NEXT) | instid1(VALU_DEP_1)
	v_lshlrev_b64 v[6:7], 3, v[6:7]
	v_add_co_u32 v6, vcc_lo, s2, v6
	s_delay_alu instid0(VALU_DEP_2)
	v_add_co_ci_u32_e32 v7, vcc_lo, s3, v7, vcc_lo
	global_load_b64 v[6:7], v[6:7], off
.LBB0_6:
	s_or_b32 exec_lo, exec_lo, s6
	v_dual_mov_b32 v8, 0 :: v_dual_add_nc_u32 v25, 20, v27
	v_mov_b32_e32 v11, 0
	v_mov_b32_e32 v9, 0
	s_and_saveexec_b32 s6, s8
	s_cbranch_execz .LBB0_8
; %bb.7:
	v_mul_lo_u32 v2, s4, v25
	v_mov_b32_e32 v9, 0
	s_delay_alu instid0(VALU_DEP_2) | instskip(NEXT) | instid1(VALU_DEP_1)
	v_add3_u32 v8, s5, v1, v2
	v_lshlrev_b64 v[8:9], 3, v[8:9]
	s_delay_alu instid0(VALU_DEP_1) | instskip(NEXT) | instid1(VALU_DEP_2)
	v_add_co_u32 v8, vcc_lo, s2, v8
	v_add_co_ci_u32_e32 v9, vcc_lo, s3, v9, vcc_lo
	global_load_b64 v[8:9], v[8:9], off
.LBB0_8:
	s_or_b32 exec_lo, exec_lo, s6
	v_mov_b32_e32 v10, 0
	s_and_saveexec_b32 s6, s8
	s_cbranch_execz .LBB0_10
; %bb.9:
	v_dual_mov_b32 v11, 0 :: v_dual_add_nc_u32 v2, 0x78, v27
	s_delay_alu instid0(VALU_DEP_1) | instskip(NEXT) | instid1(VALU_DEP_1)
	v_mul_lo_u32 v2, s4, v2
	v_add3_u32 v10, s5, v1, v2
	s_delay_alu instid0(VALU_DEP_1) | instskip(NEXT) | instid1(VALU_DEP_1)
	v_lshlrev_b64 v[10:11], 3, v[10:11]
	v_add_co_u32 v10, vcc_lo, s2, v10
	s_delay_alu instid0(VALU_DEP_2)
	v_add_co_ci_u32_e32 v11, vcc_lo, s3, v11, vcc_lo
	global_load_b64 v[10:11], v[10:11], off
.LBB0_10:
	s_or_b32 exec_lo, exec_lo, s6
	v_dual_mov_b32 v15, 0 :: v_dual_add_nc_u32 v26, 40, v27
	v_dual_mov_b32 v13, 0 :: v_dual_mov_b32 v12, 0
	s_and_saveexec_b32 s6, s8
	s_cbranch_execz .LBB0_12
; %bb.11:
	s_delay_alu instid0(VALU_DEP_2) | instskip(SKIP_1) | instid1(VALU_DEP_2)
	v_mul_lo_u32 v2, s4, v26
	v_mov_b32_e32 v13, 0
	v_add3_u32 v12, s5, v1, v2
	s_delay_alu instid0(VALU_DEP_1) | instskip(NEXT) | instid1(VALU_DEP_1)
	v_lshlrev_b64 v[12:13], 3, v[12:13]
	v_add_co_u32 v12, vcc_lo, s2, v12
	s_delay_alu instid0(VALU_DEP_2)
	v_add_co_ci_u32_e32 v13, vcc_lo, s3, v13, vcc_lo
	global_load_b64 v[12:13], v[12:13], off
.LBB0_12:
	s_or_b32 exec_lo, exec_lo, s6
	v_mov_b32_e32 v14, 0
	s_and_saveexec_b32 s6, s8
	s_cbranch_execz .LBB0_14
; %bb.13:
	v_dual_mov_b32 v15, 0 :: v_dual_add_nc_u32 v2, 0x8c, v27
	s_delay_alu instid0(VALU_DEP_1) | instskip(NEXT) | instid1(VALU_DEP_1)
	v_mul_lo_u32 v2, s4, v2
	v_add3_u32 v14, s5, v1, v2
	s_delay_alu instid0(VALU_DEP_1) | instskip(NEXT) | instid1(VALU_DEP_1)
	v_lshlrev_b64 v[14:15], 3, v[14:15]
	v_add_co_u32 v14, vcc_lo, s2, v14
	s_delay_alu instid0(VALU_DEP_2)
	v_add_co_ci_u32_e32 v15, vcc_lo, s3, v15, vcc_lo
	global_load_b64 v[14:15], v[14:15], off
.LBB0_14:
	s_or_b32 exec_lo, exec_lo, s6
	v_dual_mov_b32 v19, 0 :: v_dual_add_nc_u32 v2, 60, v27
	v_dual_mov_b32 v17, 0 :: v_dual_mov_b32 v16, 0
	s_and_saveexec_b32 s6, s8
	s_cbranch_execz .LBB0_16
; %bb.15:
	s_delay_alu instid0(VALU_DEP_2) | instskip(SKIP_1) | instid1(VALU_DEP_2)
	v_mul_lo_u32 v16, s4, v2
	v_mov_b32_e32 v17, 0
	v_add3_u32 v16, s5, v1, v16
	s_delay_alu instid0(VALU_DEP_1) | instskip(NEXT) | instid1(VALU_DEP_1)
	v_lshlrev_b64 v[16:17], 3, v[16:17]
	v_add_co_u32 v16, vcc_lo, s2, v16
	s_delay_alu instid0(VALU_DEP_2)
	v_add_co_ci_u32_e32 v17, vcc_lo, s3, v17, vcc_lo
	global_load_b64 v[16:17], v[16:17], off
.LBB0_16:
	s_or_b32 exec_lo, exec_lo, s6
	v_mov_b32_e32 v18, 0
	s_and_saveexec_b32 s6, s8
	s_cbranch_execz .LBB0_18
; %bb.17:
	v_or_b32_e32 v18, 0xa0, v27
	v_mov_b32_e32 v19, 0
	s_delay_alu instid0(VALU_DEP_2) | instskip(NEXT) | instid1(VALU_DEP_1)
	v_mul_lo_u32 v18, s4, v18
	v_add3_u32 v18, s5, v1, v18
	s_delay_alu instid0(VALU_DEP_1) | instskip(NEXT) | instid1(VALU_DEP_1)
	v_lshlrev_b64 v[18:19], 3, v[18:19]
	v_add_co_u32 v18, vcc_lo, s2, v18
	s_delay_alu instid0(VALU_DEP_2)
	v_add_co_ci_u32_e32 v19, vcc_lo, s3, v19, vcc_lo
	global_load_b64 v[18:19], v[18:19], off
.LBB0_18:
	s_or_b32 exec_lo, exec_lo, s6
	s_load_b64 s[6:7], s[0:1], 0x0
	v_dual_mov_b32 v23, 0 :: v_dual_add_nc_u32 v24, 0x50, v27
	v_dual_mov_b32 v21, 0 :: v_dual_mov_b32 v20, 0
	s_and_saveexec_b32 s9, s8
	s_cbranch_execz .LBB0_20
; %bb.19:
	s_delay_alu instid0(VALU_DEP_2) | instskip(SKIP_1) | instid1(VALU_DEP_2)
	v_mul_lo_u32 v20, s4, v24
	v_mov_b32_e32 v21, 0
	v_add3_u32 v20, s5, v1, v20
	s_delay_alu instid0(VALU_DEP_1) | instskip(NEXT) | instid1(VALU_DEP_1)
	v_lshlrev_b64 v[20:21], 3, v[20:21]
	v_add_co_u32 v20, vcc_lo, s2, v20
	s_delay_alu instid0(VALU_DEP_2)
	v_add_co_ci_u32_e32 v21, vcc_lo, s3, v21, vcc_lo
	global_load_b64 v[20:21], v[20:21], off
.LBB0_20:
	s_or_b32 exec_lo, exec_lo, s9
	v_mov_b32_e32 v22, 0
	s_and_saveexec_b32 s9, s8
	s_cbranch_execz .LBB0_22
; %bb.21:
	v_dual_mov_b32 v23, 0 :: v_dual_add_nc_u32 v22, 0xb4, v27
	s_delay_alu instid0(VALU_DEP_1) | instskip(NEXT) | instid1(VALU_DEP_1)
	v_mul_lo_u32 v22, s4, v22
	v_add3_u32 v22, s5, v1, v22
	s_delay_alu instid0(VALU_DEP_1) | instskip(NEXT) | instid1(VALU_DEP_1)
	v_lshlrev_b64 v[22:23], 3, v[22:23]
	v_add_co_u32 v22, vcc_lo, s2, v22
	s_delay_alu instid0(VALU_DEP_2)
	v_add_co_ci_u32_e32 v23, vcc_lo, s3, v23, vcc_lo
	global_load_b64 v[22:23], v[22:23], off
.LBB0_22:
	s_or_b32 exec_lo, exec_lo, s9
	s_waitcnt vmcnt(0)
	v_dual_sub_f32 v6, v4, v6 :: v_dual_sub_f32 v7, v5, v7
	v_dual_sub_f32 v10, v8, v10 :: v_dual_sub_f32 v11, v9, v11
	;; [unrolled: 1-line block ×3, first 2 shown]
	s_delay_alu instid0(VALU_DEP_3) | instskip(NEXT) | instid1(VALU_DEP_4)
	v_fma_f32 v29, v4, 2.0, -v6
	v_fma_f32 v30, v5, 2.0, -v7
	v_mul_u32_u24_e32 v5, 0xa0, v27
	v_dual_sub_f32 v19, v17, v19 :: v_dual_lshlrev_b32 v4, 3, v28
	v_fma_f32 v8, v8, 2.0, -v10
	v_fma_f32 v9, v9, 2.0, -v11
	v_dual_sub_f32 v18, v16, v18 :: v_dual_sub_f32 v23, v21, v23
	s_delay_alu instid0(VALU_DEP_4)
	v_add3_u32 v5, 0, v5, v4
	v_sub_f32_e32 v22, v20, v22
	v_fma_f32 v12, v12, 2.0, -v14
	v_fma_f32 v13, v13, 2.0, -v15
	;; [unrolled: 1-line block ×3, first 2 shown]
	v_add_nc_u32_e32 v28, 0x800, v5
	ds_store_2addr_b64 v5, v[29:30], v[6:7] offset1:10
	v_add_nc_u32_e32 v6, 0x1800, v5
	v_fma_f32 v17, v17, 2.0, -v19
	v_add_nc_u32_e32 v7, 0x2400, v5
	ds_store_2addr_b64 v28, v[8:9], v[10:11] offset0:144 offset1:154
	v_and_b32_e32 v9, 1, v27
	v_fma_f32 v20, v20, 2.0, -v22
	v_fma_f32 v21, v21, 2.0, -v23
	v_add_nc_u32_e32 v8, 0x3000, v5
	ds_store_2addr_b64 v6, v[12:13], v[14:15] offset0:32 offset1:42
	ds_store_b64 v5, v[16:17] offset:9600
	ds_store_2addr_b32 v7, v18, v19 offset0:116 offset1:117
	ds_store_2addr_b32 v8, v20, v21 offset0:128 offset1:129
	v_lshlrev_b32_e32 v6, 5, v9
	v_mul_i32_i24_e32 v11, 0xffffffb0, v26
	ds_store_2addr_b32 v8, v22, v23 offset0:148 offset1:149
	s_waitcnt lgkmcnt(0)
	s_barrier
	buffer_gl0_inv
	s_clause 0x1
	global_load_b128 v[12:15], v6, s[6:7]
	global_load_b128 v[16:19], v6, s[6:7] offset:16
	v_lshrrev_b32_e32 v6, 1, v27
	v_mul_lo_u16 v8, v27, 26
	v_mad_i32_i24 v10, 0xffffffb0, v27, v5
	v_add_nc_u32_e32 v20, 0x3200, v5
	v_lshrrev_b32_e32 v7, 1, v25
	v_mul_u32_u24_e32 v6, 10, v6
	v_lshrrev_b16 v42, 8, v8
	v_add3_u32 v8, 0x1900, v5, v11
	v_add_nc_u32_e32 v28, 0x3200, v10
	v_mul_u32_u24_e32 v7, 10, v7
	v_or_b32_e32 v11, v6, v9
	ds_load_b64 v[5:6], v8
	ds_load_b64 v[32:33], v10 offset:4800
	v_mul_lo_u16 v21, v42, 10
	ds_load_2addr_b64 v[28:31], v28 offset1:200
	v_mul_u32_u24_e32 v40, 0x50, v11
	v_sub_nc_u16 v37, v27, v21
	s_delay_alu instid0(VALU_DEP_2) | instskip(SKIP_1) | instid1(VALU_DEP_2)
	v_add3_u32 v44, 0, v40, v4
	s_waitcnt vmcnt(1) lgkmcnt(2)
	v_dual_mul_f32 v46, v13, v6 :: v_dual_and_b32 v43, 0xff, v37
	s_waitcnt vmcnt(0) lgkmcnt(0)
	v_mul_f32_e32 v58, v30, v19
	v_or_b32_e32 v7, v7, v9
	v_mad_i32_i24 v9, 0xffffffb0, v24, v20
	v_dual_mul_f32 v47, v13, v5 :: v_dual_add_nc_u32 v20, 0x2400, v10
	v_mul_f32_e32 v52, v19, v29
	v_mul_f32_e32 v53, v19, v28
	ds_load_b64 v[34:35], v9
	ds_load_2addr_b64 v[20:23], v20 offset0:48 offset1:248
	v_fmac_f32_e32 v47, v12, v6
	v_add_nc_u32_e32 v36, 0x1c00, v10
	v_add_nc_u32_e32 v11, 0xffffed40, v9
	v_mul_u32_u24_e32 v45, 9, v43
	v_fma_f32 v5, v12, v5, -v46
	v_fma_f32 v28, v18, v28, -v52
	v_fmac_f32_e32 v58, v31, v18
	v_mul_u32_u24_e32 v7, 0x50, v7
	v_lshlrev_b32_e32 v45, 3, v45
	s_delay_alu instid0(VALU_DEP_2)
	v_add3_u32 v7, 0, v7, v4
	s_waitcnt lgkmcnt(0)
	v_dual_mul_f32 v48, v15, v35 :: v_dual_mul_f32 v57, v22, v17
	ds_load_2addr_b32 v[36:37], v36 offset0:208 offset1:209
	ds_load_b64 v[38:39], v10
	ds_load_2addr_b32 v[40:41], v11 offset1:1
	v_dual_mul_f32 v50, v17, v21 :: v_dual_mul_f32 v49, v15, v34
	v_mul_f32_e32 v51, v17, v20
	v_fma_f32 v6, v14, v34, -v48
	v_mul_f32_e32 v54, v13, v33
	v_mul_f32_e32 v13, v13, v32
	v_fmac_f32_e32 v49, v14, v35
	v_fmac_f32_e32 v57, v23, v16
	s_waitcnt lgkmcnt(0)
	s_barrier
	v_fmac_f32_e32 v13, v12, v33
	buffer_gl0_inv
	v_mul_f32_e32 v55, v37, v15
	v_mul_f32_e32 v15, v15, v36
	;; [unrolled: 1-line block ×4, first 2 shown]
	v_fma_f32 v19, v16, v20, -v50
	v_fmac_f32_e32 v51, v16, v21
	v_fmac_f32_e32 v15, v37, v14
	v_fma_f32 v21, v22, v16, -v56
	v_fma_f32 v20, v12, v32, -v54
	v_add_f32_e32 v16, v6, v19
	v_fmac_f32_e32 v53, v18, v29
	v_fma_f32 v12, v14, v36, -v55
	v_fma_f32 v29, v30, v18, -v17
	v_sub_f32_e32 v30, v49, v51
	v_add_f32_e32 v14, v38, v5
	v_dual_add_f32 v22, v5, v28 :: v_dual_sub_f32 v31, v6, v5
	v_dual_add_f32 v34, v49, v51 :: v_dual_sub_f32 v23, v47, v53
	v_dual_sub_f32 v18, v28, v19 :: v_dual_sub_f32 v17, v5, v6
	v_sub_f32_e32 v32, v19, v28
	v_dual_add_f32 v33, v39, v47 :: v_dual_add_f32 v52, v40, v20
	v_add_f32_e32 v48, v47, v53
	v_dual_add_f32 v54, v12, v21 :: v_dual_add_f32 v69, v13, v58
	v_add_f32_e32 v61, v20, v29
	v_dual_add_f32 v65, v15, v57 :: v_dual_add_f32 v14, v14, v6
	v_dual_sub_f32 v37, v47, v49 :: v_dual_sub_f32 v46, v53, v51
	v_sub_f32_e32 v47, v49, v47
	v_add_f32_e32 v64, v41, v13
	v_dual_sub_f32 v35, v5, v28 :: v_dual_sub_f32 v36, v6, v19
	v_fma_f32 v5, -0.5, v16, v38
	v_fma_f32 v38, -0.5, v22, v38
	;; [unrolled: 1-line block ×3, first 2 shown]
	v_dual_sub_f32 v50, v51, v53 :: v_dual_sub_f32 v55, v13, v58
	v_dual_sub_f32 v56, v15, v57 :: v_dual_sub_f32 v59, v20, v12
	;; [unrolled: 1-line block ×4, first 2 shown]
	v_dual_sub_f32 v67, v12, v21 :: v_dual_add_f32 v72, v17, v18
	v_sub_f32_e32 v20, v13, v15
	v_sub_f32_e32 v68, v58, v57
	v_dual_add_f32 v17, v33, v49 :: v_dual_add_f32 v18, v52, v12
	v_dual_fmac_f32 v39, -0.5, v48 :: v_dual_sub_f32 v70, v15, v13
	v_fma_f32 v12, -0.5, v54, v40
	v_fma_f32 v40, -0.5, v61, v40
	;; [unrolled: 1-line block ×3, first 2 shown]
	v_dual_sub_f32 v60, v29, v21 :: v_dual_add_f32 v31, v31, v32
	v_dual_add_f32 v32, v37, v46 :: v_dual_fmac_f32 v41, -0.5, v69
	v_dual_add_f32 v22, v64, v15 :: v_dual_fmamk_f32 v15, v35, 0xbf737871, v6
	v_add_f32_e32 v48, v14, v19
	v_dual_fmamk_f32 v14, v23, 0x3f737871, v5 :: v_dual_add_f32 v49, v17, v51
	v_fmamk_f32 v16, v30, 0xbf737871, v38
	s_delay_alu instid0(VALU_DEP_4)
	v_dual_fmac_f32 v38, 0x3f737871, v30 :: v_dual_add_f32 v51, v22, v57
	v_dual_add_f32 v33, v47, v50 :: v_dual_add_f32 v46, v20, v68
	v_fmac_f32_e32 v5, 0xbf737871, v23
	v_dual_fmac_f32 v6, 0x3f737871, v35 :: v_dual_fmamk_f32 v17, v36, 0x3f737871, v39
	v_dual_fmac_f32 v39, 0xbf737871, v36 :: v_dual_add_f32 v50, v18, v21
	v_fmamk_f32 v21, v67, 0x3f737871, v41
	v_fmamk_f32 v18, v55, 0x3f737871, v12
	v_dual_fmac_f32 v12, 0xbf737871, v55 :: v_dual_fmamk_f32 v19, v66, 0xbf737871, v13
	v_dual_fmamk_f32 v20, v56, 0xbf737871, v40 :: v_dual_fmac_f32 v41, 0xbf737871, v67
	v_dual_fmac_f32 v40, 0x3f737871, v56 :: v_dual_fmac_f32 v13, 0x3f737871, v66
	v_dual_fmac_f32 v14, 0x3f167918, v30 :: v_dual_fmac_f32 v39, 0x3f167918, v35
	;; [unrolled: 1-line block ×3, first 2 shown]
	v_dual_add_f32 v22, v48, v28 :: v_dual_fmac_f32 v5, 0xbf167918, v30
	v_dual_fmac_f32 v16, 0x3f167918, v23 :: v_dual_fmac_f32 v41, 0x3f167918, v66
	v_dual_fmac_f32 v6, 0x3f167918, v36 :: v_dual_fmac_f32 v13, 0x3f167918, v67
	v_dual_fmac_f32 v17, 0xbf167918, v35 :: v_dual_add_f32 v28, v50, v29
	v_dual_add_f32 v37, v62, v63 :: v_dual_add_f32 v34, v59, v60
	v_add_f32_e32 v47, v70, v71
	v_dual_add_f32 v23, v49, v53 :: v_dual_fmac_f32 v18, 0x3f167918, v56
	v_dual_fmac_f32 v12, 0xbf167918, v56 :: v_dual_fmac_f32 v19, 0xbf167918, v67
	v_dual_fmac_f32 v20, 0x3f167918, v55 :: v_dual_add_f32 v29, v51, v58
	v_dual_fmac_f32 v40, 0xbf167918, v55 :: v_dual_fmac_f32 v21, 0xbf167918, v66
	v_dual_fmac_f32 v14, 0x3e9e377a, v72 :: v_dual_fmac_f32 v17, 0x3e9e377a, v33
	;; [unrolled: 1-line block ×9, first 2 shown]
	ds_store_2addr_b64 v44, v[22:23], v[14:15] offset1:20
	ds_store_2addr_b64 v44, v[16:17], v[38:39] offset0:40 offset1:60
	ds_store_b64 v44, v[5:6] offset:640
	ds_store_2addr_b64 v7, v[28:29], v[18:19] offset1:20
	ds_store_2addr_b64 v7, v[20:21], v[40:41] offset0:40 offset1:60
	ds_store_b64 v7, v[12:13] offset:640
	s_waitcnt lgkmcnt(0)
	s_barrier
	buffer_gl0_inv
	s_clause 0x4
	global_load_b128 v[15:18], v45, s[6:7] offset:64
	global_load_b128 v[19:22], v45, s[6:7] offset:80
	;; [unrolled: 1-line block ×4, first 2 shown]
	global_load_b64 v[40:41], v45, s[6:7] offset:128
	v_and_b32_e32 v5, 0xffff, v42
	v_mul_u32_u24_e32 v6, 0x50, v2
	s_delay_alu instid0(VALU_DEP_2)
	v_mad_u32_u24 v5, 0x64, v5, v43
	ds_load_b64 v[42:43], v11
	ds_load_b64 v[44:45], v8
	v_add_nc_u32_e32 v13, 0x1e00, v10
	v_add3_u32 v12, 0, v6, v4
	ds_load_b64 v[48:49], v9
	v_mul_u32_u24_e32 v5, 0x50, v5
	ds_load_b64 v[46:47], v12
	v_add3_u32 v23, 0, v5, v4
	s_delay_alu instid0(VALU_DEP_1)
	v_add_nc_u32_e32 v55, 0x800, v23
	v_add_nc_u32_e32 v57, 0x1800, v23
	s_waitcnt vmcnt(4) lgkmcnt(2)
	v_mul_f32_e32 v59, v18, v45
	v_mul_f32_e32 v18, v18, v44
	ds_load_2addr_b64 v[4:7], v13 offset0:40 offset1:240
	v_add_nc_u32_e32 v14, 0x2b00, v10
	v_mul_f32_e32 v58, v16, v43
	s_waitcnt vmcnt(3) lgkmcnt(2)
	v_dual_mul_f32 v16, v16, v42 :: v_dual_mul_f32 v61, v22, v49
	v_mul_f32_e32 v22, v22, v48
	s_delay_alu instid0(VALU_DEP_3)
	v_fma_f32 v42, v15, v42, -v58
	s_waitcnt vmcnt(2) lgkmcnt(0)
	v_dual_mul_f32 v63, v7, v31 :: v_dual_mul_f32 v62, v29, v5
	v_mul_f32_e32 v31, v6, v31
	v_mul_f32_e32 v29, v29, v4
	ds_load_2addr_b64 v[36:39], v14 offset0:24 offset1:224
	ds_load_b64 v[50:51], v10
	ds_load_b64 v[52:53], v10 offset:14400
	v_dual_mul_f32 v60, v20, v47 :: v_dual_fmac_f32 v31, v7, v30
	v_mul_f32_e32 v20, v20, v46
	v_add_nc_u32_e32 v54, 0x400, v23
	v_add_nc_u32_e32 v56, 0x1000, v23
	v_dual_fmac_f32 v16, v15, v43 :: v_dual_fmac_f32 v29, v28, v5
	v_fma_f32 v15, v17, v44, -v59
	v_fma_f32 v5, v6, v30, -v63
	v_fma_f32 v4, v28, v4, -v62
	s_waitcnt vmcnt(0) lgkmcnt(0)
	s_barrier
	buffer_gl0_inv
	v_dual_mul_f32 v64, v37, v33 :: v_dual_mul_f32 v65, v39, v35
	v_dual_mul_f32 v35, v38, v35 :: v_dual_mul_f32 v66, v53, v41
	v_mul_f32_e32 v33, v36, v33
	v_mul_f32_e32 v41, v52, v41
	s_delay_alu instid0(VALU_DEP_3) | instskip(SKIP_1) | instid1(VALU_DEP_4)
	v_dual_fmac_f32 v18, v17, v45 :: v_dual_fmac_f32 v35, v39, v34
	v_fma_f32 v17, v19, v46, -v60
	v_dual_fmac_f32 v20, v19, v47 :: v_dual_fmac_f32 v33, v37, v32
	v_fma_f32 v19, v21, v48, -v61
	v_fmac_f32_e32 v22, v21, v49
	v_fma_f32 v7, v38, v34, -v65
	v_fma_f32 v6, v36, v32, -v64
	;; [unrolled: 1-line block ×3, first 2 shown]
	v_sub_f32_e32 v39, v19, v15
	v_dual_fmac_f32 v41, v53, v40 :: v_dual_add_f32 v28, v50, v15
	s_delay_alu instid0(VALU_DEP_4)
	v_dual_add_f32 v30, v19, v5 :: v_dual_add_f32 v53, v4, v6
	v_dual_sub_f32 v32, v18, v35 :: v_dual_sub_f32 v37, v7, v5
	v_dual_sub_f32 v34, v22, v31 :: v_dual_add_f32 v43, v51, v18
	v_dual_sub_f32 v36, v15, v19 :: v_dual_sub_f32 v59, v29, v33
	v_dual_add_f32 v44, v22, v31 :: v_dual_sub_f32 v63, v4, v17
	v_dual_add_f32 v38, v15, v7 :: v_dual_sub_f32 v61, v21, v6
	v_dual_sub_f32 v40, v5, v7 :: v_dual_sub_f32 v45, v19, v5
	v_dual_sub_f32 v15, v15, v7 :: v_dual_sub_f32 v46, v18, v22
	v_sub_f32_e32 v47, v35, v31
	v_dual_add_f32 v48, v18, v35 :: v_dual_add_f32 v65, v16, v20
	v_dual_sub_f32 v18, v22, v18 :: v_dual_sub_f32 v49, v31, v35
	v_add_f32_e32 v52, v42, v17
	v_dual_add_f32 v62, v17, v21 :: v_dual_add_f32 v19, v28, v19
	v_dual_sub_f32 v69, v41, v33 :: v_dual_add_f32 v22, v43, v22
	v_fma_f32 v72, -0.5, v30, v50
	v_add_f32_e32 v28, v36, v37
	v_fma_f32 v37, -0.5, v44, v51
	v_dual_sub_f32 v58, v20, v41 :: v_dual_fmac_f32 v51, -0.5, v48
	v_dual_sub_f32 v60, v17, v4 :: v_dual_sub_f32 v67, v4, v6
	v_sub_f32_e32 v64, v6, v21
	v_sub_f32_e32 v68, v20, v29
	v_add_f32_e32 v70, v20, v41
	v_dual_sub_f32 v20, v29, v20 :: v_dual_add_f32 v5, v19, v5
	v_sub_f32_e32 v71, v33, v41
	v_fma_f32 v36, -0.5, v38, v50
	v_add_f32_e32 v38, v46, v47
	v_add_f32_e32 v4, v52, v4
	v_dual_fmamk_f32 v47, v32, 0x3f737871, v72 :: v_dual_add_f32 v66, v29, v33
	v_add_f32_e32 v43, v63, v64
	v_add_f32_e32 v19, v22, v31
	v_fmamk_f32 v31, v15, 0xbf737871, v37
	v_dual_sub_f32 v17, v17, v21 :: v_dual_add_f32 v30, v39, v40
	v_dual_add_f32 v18, v18, v49 :: v_dual_fmamk_f32 v49, v45, 0x3f737871, v51
	v_fma_f32 v39, -0.5, v53, v42
	v_dual_fmac_f32 v42, -0.5, v62 :: v_dual_fmac_f32 v51, 0xbf737871, v45
	v_add_f32_e32 v29, v65, v29
	v_fma_f32 v44, -0.5, v66, v16
	v_dual_fmac_f32 v16, -0.5, v70 :: v_dual_add_f32 v7, v5, v7
	v_dual_fmac_f32 v72, 0xbf737871, v32 :: v_dual_add_f32 v19, v19, v35
	v_dual_add_f32 v4, v4, v6 :: v_dual_fmac_f32 v31, 0xbf167918, v45
	v_fmamk_f32 v48, v34, 0xbf737871, v36
	v_add_f32_e32 v20, v20, v71
	v_dual_fmac_f32 v37, 0x3f737871, v15 :: v_dual_add_f32 v6, v29, v33
	v_fmac_f32_e32 v47, 0x3f167918, v34
	v_fmamk_f32 v33, v67, 0x3f737871, v16
	v_dual_fmac_f32 v72, 0xbf167918, v34 :: v_dual_fmac_f32 v49, 0xbf167918, v15
	v_fmac_f32_e32 v51, 0x3f167918, v15
	v_dual_add_f32 v15, v4, v21 :: v_dual_fmac_f32 v48, 0x3f167918, v32
	v_fmac_f32_e32 v37, 0x3f167918, v45
	v_dual_add_f32 v46, v68, v69 :: v_dual_fmamk_f32 v29, v17, 0xbf737871, v44
	v_dual_fmac_f32 v36, 0x3f737871, v34 :: v_dual_add_f32 v21, v6, v41
	v_fmamk_f32 v22, v58, 0x3f737871, v39
	v_dual_fmac_f32 v33, 0xbf167918, v17 :: v_dual_add_f32 v4, v7, v15
	v_dual_fmac_f32 v47, 0x3e9e377a, v28 :: v_dual_fmac_f32 v48, 0x3e9e377a, v30
	v_fmamk_f32 v50, v59, 0xbf737871, v42
	v_fmac_f32_e32 v42, 0x3f737871, v59
	v_dual_add_f32 v40, v60, v61 :: v_dual_fmac_f32 v39, 0xbf737871, v58
	v_fmac_f32_e32 v29, 0xbf167918, v67
	v_dual_fmac_f32 v72, 0x3e9e377a, v28 :: v_dual_fmac_f32 v31, 0x3e9e377a, v38
	v_dual_fmac_f32 v33, 0x3e9e377a, v20 :: v_dual_sub_f32 v6, v7, v15
	v_dual_add_f32 v5, v19, v21 :: v_dual_fmac_f32 v22, 0x3f167918, v59
	v_dual_sub_f32 v7, v19, v21 :: v_dual_fmac_f32 v42, 0xbf167918, v58
	v_dual_fmac_f32 v36, 0xbf167918, v32 :: v_dual_fmac_f32 v39, 0xbf167918, v59
	s_delay_alu instid0(VALU_DEP_3) | instskip(SKIP_2) | instid1(VALU_DEP_4)
	v_dual_fmac_f32 v37, 0x3e9e377a, v38 :: v_dual_fmac_f32 v22, 0x3e9e377a, v40
	v_fmac_f32_e32 v29, 0x3e9e377a, v46
	v_fmac_f32_e32 v50, 0x3f167918, v58
	v_dual_fmac_f32 v36, 0x3e9e377a, v30 :: v_dual_fmac_f32 v39, 0x3e9e377a, v40
	v_fmac_f32_e32 v16, 0xbf737871, v67
	v_dual_fmac_f32 v51, 0x3e9e377a, v18 :: v_dual_fmac_f32 v42, 0x3e9e377a, v43
	v_mul_f32_e32 v28, 0x3f167918, v29
	v_mul_f32_e32 v35, 0xbf167918, v22
	v_dual_fmac_f32 v49, 0x3e9e377a, v18 :: v_dual_fmac_f32 v50, 0x3e9e377a, v43
	v_mul_f32_e32 v30, 0x3f737871, v33
	s_delay_alu instid0(VALU_DEP_3) | instskip(SKIP_3) | instid1(VALU_DEP_4)
	v_dual_fmac_f32 v28, 0x3f4f1bbd, v22 :: v_dual_fmac_f32 v35, 0x3f4f1bbd, v29
	v_fmac_f32_e32 v16, 0x3f167918, v17
	v_fmac_f32_e32 v44, 0x3f737871, v17
	v_mul_f32_e32 v38, 0xbf737871, v50
	v_dual_fmac_f32 v30, 0x3e9e377a, v50 :: v_dual_sub_f32 v29, v31, v35
	s_delay_alu instid0(VALU_DEP_4) | instskip(NEXT) | instid1(VALU_DEP_3)
	v_dual_fmac_f32 v16, 0x3e9e377a, v20 :: v_dual_mul_f32 v15, 0x3e9e377a, v42
	v_fmac_f32_e32 v38, 0x3e9e377a, v33
	v_mul_f32_e32 v17, 0x3f4f1bbd, v39
	s_delay_alu instid0(VALU_DEP_3) | instskip(NEXT) | instid1(VALU_DEP_4)
	v_mul_f32_e32 v18, 0x3e9e377a, v16
	v_fma_f32 v32, 0x3f737871, v16, -v15
	v_dual_add_f32 v15, v47, v28 :: v_dual_fmac_f32 v44, 0x3f167918, v67
	v_dual_add_f32 v16, v31, v35 :: v_dual_sub_f32 v31, v49, v38
	s_delay_alu instid0(VALU_DEP_4) | instskip(SKIP_1) | instid1(VALU_DEP_4)
	v_fma_f32 v33, 0xbf737871, v42, -v18
	v_add_f32_e32 v18, v49, v38
	v_fmac_f32_e32 v44, 0x3e9e377a, v46
	v_sub_f32_e32 v28, v47, v28
	s_delay_alu instid0(VALU_DEP_4) | instskip(SKIP_1) | instid1(VALU_DEP_4)
	v_add_f32_e32 v20, v51, v33
	v_sub_f32_e32 v33, v51, v33
	v_mul_f32_e32 v19, 0x3f4f1bbd, v44
	v_fma_f32 v34, 0x3f167918, v44, -v17
	v_add_f32_e32 v17, v48, v30
	v_sub_f32_e32 v30, v48, v30
	s_delay_alu instid0(VALU_DEP_4)
	v_fma_f32 v39, 0xbf167918, v39, -v19
	v_add_f32_e32 v19, v36, v32
	v_add_f32_e32 v21, v72, v34
	v_sub_f32_e32 v32, v36, v32
	v_sub_f32_e32 v34, v72, v34
	v_add_f32_e32 v22, v37, v39
	v_sub_f32_e32 v35, v37, v39
	ds_store_2addr_b64 v23, v[4:5], v[15:16] offset1:100
	ds_store_2addr_b64 v54, v[17:18], v[19:20] offset0:72 offset1:172
	ds_store_2addr_b64 v55, v[21:22], v[6:7] offset0:144 offset1:244
	;; [unrolled: 1-line block ×4, first 2 shown]
	s_waitcnt lgkmcnt(0)
	s_barrier
	buffer_gl0_inv
	s_and_saveexec_b32 s9, s8
	s_cbranch_execz .LBB0_24
; %bb.23:
	v_subrev_nc_u32_e32 v4, 40, v27
	v_cmp_gt_u32_e32 vcc_lo, 0x190, v0
	v_mov_b32_e32 v5, 0
	s_load_b64 s[0:1], s[0:1], 0x8
	s_delay_alu instid0(VALU_DEP_3)
	v_cndmask_b32_e32 v6, v4, v2, vcc_lo
	v_subrev_nc_u32_e32 v4, 60, v27
	v_cmp_gt_u32_e32 vcc_lo, 0x258, v0
	v_mov_b32_e32 v7, v5
	v_mov_b32_e32 v29, v5
	v_mov_b32_e32 v33, v5
	v_sub_nc_u32_e32 v96, v2, v6
	v_cndmask_b32_e32 v22, v4, v26, vcc_lo
	v_lshlrev_b64 v[15:16], 3, v[6:7]
	v_subrev_nc_u32_e32 v4, 20, v27
	v_add_nc_u32_e32 v19, 0xffffffb0, v27
	s_delay_alu instid0(VALU_DEP_3) | instskip(NEXT) | instid1(VALU_DEP_4)
	v_add_co_u32 v15, vcc_lo, s6, v15
	v_add_co_ci_u32_e32 v16, vcc_lo, s7, v16, vcc_lo
	v_cmp_gt_u32_e32 vcc_lo, 0x320, v0
	v_add_nc_u32_e32 v7, 0xffffff9c, v27
	global_load_b64 v[30:31], v[15:16], off offset:784
	v_dual_cndmask_b32 v28, v19, v25 :: v_dual_mov_b32 v23, v5
	s_delay_alu instid0(VALU_DEP_1) | instskip(NEXT) | instid1(VALU_DEP_2)
	v_mul_lo_u32 v76, v3, v28
	v_lshlrev_b64 v[17:18], 3, v[22:23]
	v_mul_lo_u32 v23, v3, v6
	s_delay_alu instid0(VALU_DEP_2) | instskip(NEXT) | instid1(VALU_DEP_3)
	v_add_co_u32 v15, vcc_lo, s6, v17
	v_add_co_ci_u32_e32 v16, vcc_lo, s7, v18, vcc_lo
	v_lshlrev_b64 v[17:18], 3, v[28:29]
	v_cmp_gt_u32_e32 vcc_lo, 0x3e8, v0
	global_load_b64 v[34:35], v[15:16], off offset:784
	v_cndmask_b32_e32 v32, v7, v27, vcc_lo
	v_add_co_u32 v17, vcc_lo, s6, v17
	v_add_co_ci_u32_e32 v18, vcc_lo, s7, v18, vcc_lo
	v_mul_lo_u32 v27, v3, v22
	s_delay_alu instid0(VALU_DEP_4) | instskip(SKIP_3) | instid1(VALU_DEP_2)
	v_mul_lo_u32 v77, v3, v32
	global_load_b64 v[36:37], v[17:18], off offset:784
	v_lshlrev_b64 v[15:16], 3, v[32:33]
	v_add_nc_u32_e32 v33, 0x64, v28
	v_add_co_u32 v15, vcc_lo, s6, v15
	s_delay_alu instid0(VALU_DEP_3) | instskip(SKIP_1) | instid1(VALU_DEP_4)
	v_add_co_ci_u32_e32 v16, vcc_lo, s7, v16, vcc_lo
	v_cmp_gt_u32_e32 vcc_lo, 0xc8, v0
	v_mul_lo_u32 v80, v3, v33
	global_load_b64 v[38:39], v[15:16], off offset:784
	v_cndmask_b32_e32 v4, v4, v24, vcc_lo
	v_lshrrev_b32_e32 v82, 5, v80
	s_delay_alu instid0(VALU_DEP_2) | instskip(SKIP_1) | instid1(VALU_DEP_2)
	v_lshlrev_b64 v[15:16], 3, v[4:5]
	v_mul_lo_u32 v7, v3, v4
	v_add_co_u32 v15, vcc_lo, s6, v15
	s_delay_alu instid0(VALU_DEP_3) | instskip(NEXT) | instid1(VALU_DEP_3)
	v_add_co_ci_u32_e32 v16, vcc_lo, s7, v16, vcc_lo
	v_and_b32_e32 v17, 0xff, v7
	v_lshrrev_b32_e32 v18, 5, v7
	s_movk_i32 s6, 0x7f8
	global_load_b64 v[40:41], v[15:16], off offset:784
	v_lshrrev_b32_e32 v7, 13, v7
	v_lshlrev_b32_e32 v15, 3, v17
	v_and_b32_e32 v17, 0xff, v23
	v_and_b32_e32 v16, 0x7f8, v18
	v_lshrrev_b32_e32 v18, 5, v23
	s_waitcnt lgkmcnt(0)
	s_clause 0x1
	global_load_b64 v[42:43], v15, s[0:1]
	global_load_b64 v[44:45], v16, s[0:1] offset:2048
	v_lshlrev_b32_e32 v15, 3, v17
	v_and_b32_e32 v17, 0xff, v27
	v_and_b32_e32 v16, 0x7f8, v18
	v_lshrrev_b32_e32 v18, 5, v27
	s_clause 0x1
	global_load_b64 v[46:47], v15, s[0:1]
	global_load_b64 v[48:49], v16, s[0:1] offset:2048
	v_lshlrev_b32_e32 v15, 3, v17
	v_and_b32_e32 v16, 0x7f8, v18
	s_clause 0x1
	global_load_b64 v[50:51], v15, s[0:1]
	global_load_b64 v[52:53], v16, s[0:1] offset:2048
	v_and_b32_e32 v15, 0xff, v76
	v_lshrrev_b32_e32 v16, 5, v76
	v_and_b32_e32 v17, 0xff, v77
	v_lshrrev_b32_e32 v18, 5, v77
	v_lshrrev_b32_e32 v23, 13, v23
	v_lshlrev_b32_e32 v15, 3, v15
	v_and_b32_e32 v16, 0x7f8, v16
	s_clause 0x1
	global_load_b64 v[54:55], v15, s[0:1]
	global_load_b64 v[56:57], v16, s[0:1] offset:2048
	v_add_nc_u32_e32 v15, 0x64, v4
	v_add_nc_u32_e32 v16, 0x64, v6
	v_lshrrev_b32_e32 v27, 13, v27
	v_and_or_b32 v7, v7, s6, 0x1000
	v_and_or_b32 v23, v23, s6, 0x1000
	v_mul_lo_u32 v15, v3, v15
	v_mul_lo_u32 v78, v3, v16
	v_lshlrev_b32_e32 v16, 3, v17
	v_and_b32_e32 v17, 0x7f8, v18
	s_clause 0x1
	global_load_b64 v[58:59], v16, s[0:1]
	global_load_b64 v[60:61], v17, s[0:1] offset:2048
	v_and_b32_e32 v18, 0xff, v15
	v_lshrrev_b32_e32 v19, 5, v15
	v_lshrrev_b32_e32 v15, 13, v15
	v_and_or_b32 v27, v27, s6, 0x1000
	v_cmp_lt_u32_e32 vcc_lo, 0x3e7, v0
	v_lshlrev_b32_e32 v16, 3, v18
	v_and_b32_e32 v17, 0x7f8, v19
	v_and_b32_e32 v18, 0xff, v78
	s_clause 0x1
	global_load_b64 v[62:63], v16, s[0:1]
	global_load_b64 v[64:65], v17, s[0:1] offset:2048
	v_lshrrev_b32_e32 v16, 5, v78
	v_lshlrev_b32_e32 v17, 3, v18
	v_and_or_b32 v15, v15, s6, 0x1000
	v_cndmask_b32_e64 v0, 0, 0xc8, vcc_lo
	s_delay_alu instid0(VALU_DEP_4)
	v_and_b32_e32 v16, 0x7f8, v16
	s_clause 0x2
	global_load_b64 v[66:67], v17, s[0:1]
	global_load_b64 v[68:69], v16, s[0:1] offset:2048
	global_load_b64 v[70:71], v15, s[0:1]
	ds_load_2addr_b64 v[14:17], v14 offset0:24 offset1:224
	ds_load_b64 v[72:73], v8
	ds_load_2addr_b64 v[18:21], v13 offset0:40 offset1:240
	v_add_nc_u32_e32 v29, 0x64, v22
	ds_load_b64 v[74:75], v10 offset:14400
	ds_load_b32 v81, v10
	v_sub_nc_u32_e32 v22, v26, v22
	v_mul_lo_u32 v79, v3, v29
	s_delay_alu instid0(VALU_DEP_1) | instskip(NEXT) | instid1(VALU_DEP_1)
	v_lshrrev_b32_e32 v29, 5, v79
	v_and_b32_e32 v29, 0x7f8, v29
	s_waitcnt vmcnt(19) lgkmcnt(4)
	v_mul_f32_e32 v85, v31, v16
	v_mul_f32_e32 v31, v31, v17
	s_delay_alu instid0(VALU_DEP_2) | instskip(SKIP_1) | instid1(VALU_DEP_3)
	v_fmac_f32_e32 v85, v30, v17
	v_add_nc_u32_e32 v13, 0x64, v32
	v_fma_f32 v86, v30, v16, -v31
	s_delay_alu instid0(VALU_DEP_2) | instskip(SKIP_1) | instid1(VALU_DEP_2)
	v_mul_lo_u32 v3, v3, v13
	v_and_b32_e32 v13, 0xff, v79
	v_lshrrev_b32_e32 v84, 5, v3
	s_waitcnt vmcnt(18)
	v_mul_f32_e32 v87, v35, v14
	s_delay_alu instid0(VALU_DEP_2) | instskip(NEXT) | instid1(VALU_DEP_2)
	v_dual_mul_f32 v16, v35, v15 :: v_dual_and_b32 v35, 0x7f8, v84
	v_fmac_f32_e32 v87, v34, v15
	v_and_b32_e32 v33, 0xff, v80
	s_delay_alu instid0(VALU_DEP_1) | instskip(SKIP_2) | instid1(VALU_DEP_1)
	v_lshlrev_b32_e32 v33, 3, v33
	s_waitcnt vmcnt(17) lgkmcnt(2)
	v_mul_f32_e32 v30, v37, v21
	v_fma_f32 v88, v36, v20, -v30
	s_waitcnt vmcnt(16)
	v_mul_f32_e32 v84, v39, v18
	s_delay_alu instid0(VALU_DEP_1) | instskip(SKIP_2) | instid1(VALU_DEP_2)
	v_fmac_f32_e32 v84, v38, v19
	v_and_b32_e32 v83, 0xff, v3
	v_lshrrev_b32_e32 v3, 13, v3
	v_lshlrev_b32_e32 v31, 3, v83
	v_mul_f32_e32 v83, v37, v20
	v_lshrrev_b32_e32 v37, 13, v77
	s_delay_alu instid0(VALU_DEP_4) | instskip(NEXT) | instid1(VALU_DEP_3)
	v_and_or_b32 v3, v3, s6, 0x1000
	v_fmac_f32_e32 v83, v36, v21
	v_lshlrev_b32_e32 v13, 3, v13
	s_waitcnt vmcnt(15) lgkmcnt(1)
	v_mul_f32_e32 v77, v41, v74
	s_waitcnt vmcnt(13)
	v_mul_f32_e32 v89, v42, v45
	s_delay_alu instid0(VALU_DEP_1)
	v_fmac_f32_e32 v89, v43, v44
	v_and_b32_e32 v17, 0x7f8, v82
	v_fma_f32 v82, v34, v14, -v16
	v_mul_f32_e32 v34, v39, v19
	s_clause 0x3
	global_load_b64 v[13:14], v13, s[0:1]
	global_load_b64 v[15:16], v29, s[0:1] offset:2048
	global_load_b64 v[20:21], v33, s[0:1]
	global_load_b64 v[29:30], v17, s[0:1] offset:2048
	v_fma_f32 v19, v38, v18, -v34
	s_clause 0x2
	global_load_b64 v[17:18], v31, s[0:1]
	global_load_b64 v[33:34], v35, s[0:1] offset:2048
	global_load_b64 v[35:36], v7, s[0:1]
	s_waitcnt vmcnt(16)
	v_dual_mul_f32 v7, v41, v75 :: v_dual_mul_f32 v90, v50, v53
	v_lshrrev_b32_e32 v31, 13, v76
	v_lshrrev_b32_e32 v76, 13, v78
	v_and_or_b32 v41, v37, s6, 0x1000
	global_load_b64 v[37:38], v23, s[0:1]
	v_fma_f32 v78, v40, v74, -v7
	v_dual_fmac_f32 v90, v51, v52 :: v_dual_fmac_f32 v77, v40, v75
	global_load_b64 v[39:40], v27, s[0:1]
	v_and_or_b32 v31, v31, s6, 0x1000
	v_mul_f32_e32 v7, v43, v45
	global_load_b64 v[74:75], v31, s[0:1]
	v_and_or_b32 v23, v76, s6, 0x1000
	v_fma_f32 v76, v42, v44, -v7
	v_lshrrev_b32_e32 v7, 13, v80
	v_lshrrev_b32_e32 v27, 13, v79
	s_clause 0x1
	global_load_b64 v[41:42], v41, s[0:1]
	global_load_b64 v[43:44], v23, s[0:1]
	v_mul_f32_e32 v23, v47, v49
	v_mul_f32_e32 v79, v46, v49
	v_and_or_b32 v7, v7, s6, 0x1000
	v_and_or_b32 v27, v27, s6, 0x1000
	s_delay_alu instid0(VALU_DEP_4) | instskip(NEXT) | instid1(VALU_DEP_4)
	v_fma_f32 v80, v46, v48, -v23
	v_fmac_f32_e32 v79, v47, v48
	s_clause 0x1
	global_load_b64 v[47:48], v7, s[0:1]
	global_load_b64 v[45:46], v27, s[0:1]
	v_mul_f32_e32 v23, v51, v53
	v_add_nc_u32_e32 v31, v22, v26
	s_delay_alu instid0(VALU_DEP_2)
	v_fma_f32 v91, v50, v52, -v23
	global_load_b64 v[49:50], v3, s[0:1]
	s_waitcnt vmcnt(22)
	v_mul_f32_e32 v3, v55, v57
	v_add_nc_u32_e32 v23, v32, v0
	v_add_nc_u32_e32 v0, s5, v1
	v_sub_nc_u32_e32 v1, v25, v28
	v_mul_f32_e32 v57, v54, v57
	ds_load_b64 v[51:52], v10
	v_fma_f32 v3, v54, v56, -v3
	ds_load_b64 v[53:54], v9
	ds_load_b32 v92, v9
	ds_load_b64 v[9:10], v12
	ds_load_b32 v93, v12
	ds_load_b32 v94, v8
	ds_load_b64 v[7:8], v11
	ds_load_b32 v95, v11
	v_mad_u64_u32 v[11:12], null, s4, v23, v[0:1]
	v_add_nc_u32_e32 v6, 0x64, v23
	v_add_nc_u32_e32 v1, v1, v25
	s_waitcnt vmcnt(20)
	v_mul_f32_e32 v25, v59, v61
	v_dual_mul_f32 v61, v58, v61 :: v_dual_mov_b32 v12, v5
	s_delay_alu instid0(VALU_DEP_3) | instskip(NEXT) | instid1(VALU_DEP_3)
	v_mad_u64_u32 v[22:23], null, s4, v6, v[0:1]
	v_fma_f32 v6, v58, v60, -v25
	s_waitcnt vmcnt(18)
	v_mul_f32_e32 v23, v63, v65
	v_mul_f32_e32 v58, v62, v65
	v_mad_u64_u32 v[25:26], null, s4, v1, v[0:1]
	s_waitcnt lgkmcnt(6)
	v_sub_f32_e32 v53, v53, v78
	v_lshlrev_b64 v[11:12], 3, v[11:12]
	v_dual_fmac_f32 v58, v63, v64 :: v_dual_fmac_f32 v61, v60, v59
	v_fma_f32 v59, v62, v64, -v23
	s_waitcnt vmcnt(16)
	v_mul_f32_e32 v62, v66, v69
	v_dual_fmac_f32 v57, v55, v56 :: v_dual_add_nc_u32 v60, 0x64, v31
	v_sub_f32_e32 v64, v73, v87
	v_mov_b32_e32 v26, v5
	s_delay_alu instid0(VALU_DEP_4) | instskip(SKIP_1) | instid1(VALU_DEP_3)
	v_dual_fmac_f32 v62, v67, v68 :: v_dual_add_nc_u32 v1, 0x64, v1
	v_add_co_u32 v11, vcc_lo, s2, v11
	v_lshlrev_b64 v[25:26], 3, v[25:26]
	v_add_co_ci_u32_e32 v12, vcc_lo, s3, v12, vcc_lo
	s_delay_alu instid0(VALU_DEP_4)
	v_mad_u64_u32 v[55:56], null, s4, v60, v[0:1]
	s_waitcnt lgkmcnt(4)
	v_sub_f32_e32 v60, v9, v86
	v_sub_f32_e32 v56, v10, v85
	v_mad_u64_u32 v[27:28], null, s4, v31, v[0:1]
	v_dual_mul_f32 v31, v67, v69 :: v_dual_mov_b32 v28, v5
	s_delay_alu instid0(VALU_DEP_3) | instskip(NEXT) | instid1(VALU_DEP_2)
	v_fma_f32 v10, v10, 2.0, -v56
	v_fma_f32 v63, v66, v68, -v31
	s_waitcnt lgkmcnt(1)
	v_sub_f32_e32 v66, v8, v83
	v_sub_f32_e32 v68, v52, v84
	v_lshlrev_b64 v[27:28], 3, v[27:28]
	s_delay_alu instid0(VALU_DEP_2) | instskip(SKIP_3) | instid1(VALU_DEP_2)
	v_fma_f32 v52, v52, 2.0, -v68
	s_waitcnt vmcnt(11)
	v_mul_f32_e32 v9, v21, v30
	v_mul_f32_e32 v30, v20, v30
	v_fma_f32 v20, v20, v29, -v9
	s_waitcnt vmcnt(6)
	s_delay_alu instid0(VALU_DEP_2) | instskip(NEXT) | instid1(VALU_DEP_1)
	v_dual_fmac_f32 v30, v21, v29 :: v_dual_mul_f32 v21, v91, v40
	v_fmac_f32_e32 v21, v39, v90
	v_sub_f32_e32 v65, v72, v82
	v_dual_sub_f32 v51, v51, v19 :: v_dual_mul_f32 v82, v89, v36
	v_fma_f32 v72, v8, 2.0, -v66
	s_waitcnt vmcnt(5)
	v_dual_mul_f32 v8, v17, v34 :: v_dual_mul_f32 v29, v3, v75
	s_delay_alu instid0(VALU_DEP_3) | instskip(SKIP_4) | instid1(VALU_DEP_3)
	v_fma_f32 v81, v81, 2.0, -v51
	v_sub_f32_e32 v67, v7, v88
	v_mul_f32_e32 v7, v14, v16
	v_mul_f32_e32 v16, v13, v16
	v_fmac_f32_e32 v8, v18, v33
	v_fma_f32 v13, v13, v15, -v7
	s_delay_alu instid0(VALU_DEP_3) | instskip(SKIP_3) | instid1(VALU_DEP_3)
	v_fmac_f32_e32 v16, v14, v15
	v_mul_f32_e32 v14, v76, v36
	v_mul_f32_e32 v36, v90, v40
	;; [unrolled: 1-line block ×3, first 2 shown]
	v_fmac_f32_e32 v14, v35, v89
	s_delay_alu instid0(VALU_DEP_3) | instskip(SKIP_4) | instid1(VALU_DEP_2)
	v_fma_f32 v36, v39, v91, -v36
	s_waitcnt vmcnt(2)
	v_mul_f32_e32 v39, v30, v48
	v_dual_mul_f32 v48, v20, v48 :: v_dual_mov_b32 v23, v5
	v_fmac_f32_e32 v40, v70, v58
	v_fmac_f32_e32 v48, v47, v30
	v_mul_f32_e32 v69, v18, v34
	v_dual_mul_f32 v18, v42, v61 :: v_dual_mul_f32 v7, v79, v38
	v_fmac_f32_e32 v29, v74, v57
	v_lshlrev_b64 v[22:23], 3, v[22:23]
	s_delay_alu instid0(VALU_DEP_4)
	v_fma_f32 v17, v17, v33, -v69
	v_mul_f32_e32 v33, v42, v6
	v_fma_f32 v42, v35, v76, -v82
	v_mul_f32_e32 v35, v62, v44
	v_mul_f32_e32 v44, v63, v44
	v_fma_f32 v69, v37, v80, -v7
	v_fmac_f32_e32 v33, v41, v61
	v_add_co_u32 v22, vcc_lo, s2, v22
	s_delay_alu instid0(VALU_DEP_4) | instskip(SKIP_3) | instid1(VALU_DEP_4)
	v_fmac_f32_e32 v44, v43, v62
	v_mad_u64_u32 v[31:32], null, s4, v1, v[0:1]
	v_sub_f32_e32 v1, v54, v77
	v_fma_f32 v77, v94, 2.0, -v65
	v_mul_f32_e32 v30, v60, v44
	v_dual_mul_f32 v15, v80, v38 :: v_dual_mul_f32 v38, v58, v71
	s_delay_alu instid0(VALU_DEP_4)
	v_fma_f32 v19, v54, 2.0, -v1
	v_fma_f32 v71, v41, v6, -v18
	v_mul_f32_e32 v18, v81, v33
	s_waitcnt lgkmcnt(0)
	v_fma_f32 v78, v95, 2.0, -v67
	v_fmac_f32_e32 v15, v37, v79
	s_waitcnt vmcnt(1)
	v_mul_f32_e32 v37, v16, v46
	v_mul_f32_e32 v46, v13, v46
	v_fma_f32 v54, v73, 2.0, -v64
	v_mul_f32_e32 v6, v19, v14
	v_fma_f32 v35, v43, v63, -v35
	v_fma_f32 v43, v45, v13, -v37
	v_fmac_f32_e32 v46, v45, v16
	v_mul_f32_e32 v16, v78, v29
	v_fma_f32 v34, v92, 2.0, -v53
	v_dual_fmac_f32 v30, v56, v35 :: v_dual_mul_f32 v13, v54, v21
	v_fma_f32 v73, v93, 2.0, -v60
	s_delay_alu instid0(VALU_DEP_3)
	v_dual_mov_b32 v32, v5 :: v_dual_mul_f32 v7, v34, v14
	v_mul_f32_e32 v14, v77, v21
	v_fma_f32 v6, v34, v42, -v6
	v_mul_f32_e32 v34, v65, v46
	v_mul_f32_e32 v9, v57, v75
	s_waitcnt vmcnt(0)
	v_mul_f32_e32 v57, v8, v50
	v_mul_f32_e32 v50, v17, v50
	v_fma_f32 v21, v47, v20, -v39
	v_fmac_f32_e32 v14, v54, v36
	v_fma_f32 v13, v77, v36, -v13
	v_mul_f32_e32 v36, v67, v48
	v_fmac_f32_e32 v50, v49, v8
	v_fma_f32 v41, v70, v59, -v38
	v_mul_f32_e32 v29, v72, v29
	v_lshlrev_b64 v[31:32], 3, v[31:32]
	v_fmac_f32_e32 v36, v66, v21
	v_mul_f32_e32 v38, v51, v50
	v_fma_f32 v3, v74, v3, -v9
	v_mul_f32_e32 v9, v73, v15
	v_mul_f32_e32 v15, v10, v15
	v_fma_f32 v37, v49, v17, -v57
	v_mul_f32_e32 v17, v52, v33
	v_add_co_ci_u32_e32 v23, vcc_lo, s3, v23, vcc_lo
	s_delay_alu instid0(VALU_DEP_4)
	v_fma_f32 v8, v73, v69, -v15
	v_fmac_f32_e32 v16, v72, v3
	v_fma_f32 v15, v78, v3, -v29
	v_mul_f32_e32 v3, v68, v50
	v_add_co_u32 v25, vcc_lo, s2, v25
	v_mul_f32_e32 v33, v1, v40
	v_dual_fmac_f32 v9, v10, v69 :: v_dual_mul_f32 v10, v64, v46
	v_add_co_ci_u32_e32 v26, vcc_lo, s3, v26, vcc_lo
	v_mul_f32_e32 v20, v53, v40
	v_mul_f32_e32 v39, v56, v44
	;; [unrolled: 1-line block ×3, first 2 shown]
	v_add_co_u32 v31, vcc_lo, s2, v31
	v_fmac_f32_e32 v18, v52, v71
	v_fma_f32 v17, v81, v71, -v17
	v_fmac_f32_e32 v38, v68, v37
	v_fma_f32 v37, v51, v37, -v3
	v_add_co_ci_u32_e32 v32, vcc_lo, s3, v32, vcc_lo
	v_fmac_f32_e32 v7, v19, v42
	v_fma_f32 v19, v53, v41, -v33
	v_fma_f32 v33, v65, v43, -v10
	v_add_co_u32 v10, vcc_lo, s2, v27
	v_mov_b32_e32 v56, v5
	v_fma_f32 v29, v60, v35, -v39
	v_fma_f32 v35, v67, v21, -v40
	s_clause 0x1
	global_store_b64 v[11:12], v[17:18], off
	global_store_b64 v[22:23], v[37:38], off
	v_add_co_ci_u32_e32 v11, vcc_lo, s3, v28, vcc_lo
	v_dual_fmac_f32 v20, v1, v41 :: v_dual_add_nc_u32 v3, v96, v2
	s_clause 0x2
	global_store_b64 v[25:26], v[15:16], off
	global_store_b64 v[31:32], v[35:36], off
	;; [unrolled: 1-line block ×3, first 2 shown]
	v_lshlrev_b64 v[1:2], 3, v[55:56]
	v_sub_nc_u32_e32 v13, v24, v4
	v_add_nc_u32_e32 v12, 0x64, v3
	v_fmac_f32_e32 v34, v64, v43
	s_delay_alu instid0(VALU_DEP_3) | instskip(SKIP_1) | instid1(VALU_DEP_4)
	v_add_nc_u32_e32 v14, v13, v24
	v_mad_u64_u32 v[10:11], null, s4, v3, v[0:1]
	v_mad_u64_u32 v[3:4], null, s4, v12, v[0:1]
	v_add_co_u32 v1, vcc_lo, s2, v1
	s_delay_alu instid0(VALU_DEP_4) | instskip(SKIP_1) | instid1(VALU_DEP_3)
	v_dual_mov_b32 v11, v5 :: v_dual_add_nc_u32 v16, 0x64, v14
	v_mov_b32_e32 v4, v5
	v_mad_u64_u32 v[12:13], null, s4, v14, v[0:1]
	s_delay_alu instid0(VALU_DEP_3)
	v_lshlrev_b64 v[10:11], 3, v[10:11]
	v_mov_b32_e32 v13, v5
	v_mad_u64_u32 v[14:15], null, s4, v16, v[0:1]
	v_lshlrev_b64 v[3:4], 3, v[3:4]
	v_mov_b32_e32 v15, v5
	v_add_co_ci_u32_e32 v2, vcc_lo, s3, v2, vcc_lo
	v_add_co_u32 v10, vcc_lo, s2, v10
	v_lshlrev_b64 v[12:13], 3, v[12:13]
	v_add_co_ci_u32_e32 v11, vcc_lo, s3, v11, vcc_lo
	v_add_co_u32 v3, vcc_lo, s2, v3
	v_lshlrev_b64 v[14:15], 3, v[14:15]
	v_add_co_ci_u32_e32 v4, vcc_lo, s3, v4, vcc_lo
	v_add_co_u32 v12, vcc_lo, s2, v12
	v_add_co_ci_u32_e32 v13, vcc_lo, s3, v13, vcc_lo
	s_delay_alu instid0(VALU_DEP_4)
	v_add_co_u32 v14, vcc_lo, s2, v14
	v_add_co_ci_u32_e32 v15, vcc_lo, s3, v15, vcc_lo
	s_clause 0x4
	global_store_b64 v[1:2], v[33:34], off
	global_store_b64 v[10:11], v[8:9], off
	;; [unrolled: 1-line block ×5, first 2 shown]
.LBB0_24:
	s_nop 0
	s_sendmsg sendmsg(MSG_DEALLOC_VGPRS)
	s_endpgm
	.section	.rodata,"a",@progbits
	.p2align	6, 0x0
	.amdhsa_kernel fft_rtc_fwd_len200_factors_2_5_10_2_wgs_200_tpt_20_dim2_sp_ip_CI_sbcc_twdbase8_3step_dirReg_intrinsicReadWrite
		.amdhsa_group_segment_fixed_size 0
		.amdhsa_private_segment_fixed_size 0
		.amdhsa_kernarg_size 88
		.amdhsa_user_sgpr_count 15
		.amdhsa_user_sgpr_dispatch_ptr 0
		.amdhsa_user_sgpr_queue_ptr 0
		.amdhsa_user_sgpr_kernarg_segment_ptr 1
		.amdhsa_user_sgpr_dispatch_id 0
		.amdhsa_user_sgpr_private_segment_size 0
		.amdhsa_wavefront_size32 1
		.amdhsa_uses_dynamic_stack 0
		.amdhsa_enable_private_segment 0
		.amdhsa_system_sgpr_workgroup_id_x 1
		.amdhsa_system_sgpr_workgroup_id_y 0
		.amdhsa_system_sgpr_workgroup_id_z 0
		.amdhsa_system_sgpr_workgroup_info 0
		.amdhsa_system_vgpr_workitem_id 0
		.amdhsa_next_free_vgpr 97
		.amdhsa_next_free_sgpr 20
		.amdhsa_reserve_vcc 1
		.amdhsa_float_round_mode_32 0
		.amdhsa_float_round_mode_16_64 0
		.amdhsa_float_denorm_mode_32 3
		.amdhsa_float_denorm_mode_16_64 3
		.amdhsa_dx10_clamp 1
		.amdhsa_ieee_mode 1
		.amdhsa_fp16_overflow 0
		.amdhsa_workgroup_processor_mode 1
		.amdhsa_memory_ordered 1
		.amdhsa_forward_progress 0
		.amdhsa_shared_vgpr_count 0
		.amdhsa_exception_fp_ieee_invalid_op 0
		.amdhsa_exception_fp_denorm_src 0
		.amdhsa_exception_fp_ieee_div_zero 0
		.amdhsa_exception_fp_ieee_overflow 0
		.amdhsa_exception_fp_ieee_underflow 0
		.amdhsa_exception_fp_ieee_inexact 0
		.amdhsa_exception_int_div_zero 0
	.end_amdhsa_kernel
	.text
.Lfunc_end0:
	.size	fft_rtc_fwd_len200_factors_2_5_10_2_wgs_200_tpt_20_dim2_sp_ip_CI_sbcc_twdbase8_3step_dirReg_intrinsicReadWrite, .Lfunc_end0-fft_rtc_fwd_len200_factors_2_5_10_2_wgs_200_tpt_20_dim2_sp_ip_CI_sbcc_twdbase8_3step_dirReg_intrinsicReadWrite
                                        ; -- End function
	.section	.AMDGPU.csdata,"",@progbits
; Kernel info:
; codeLenInByte = 7060
; NumSgprs: 22
; NumVgprs: 97
; ScratchSize: 0
; MemoryBound: 0
; FloatMode: 240
; IeeeMode: 1
; LDSByteSize: 0 bytes/workgroup (compile time only)
; SGPRBlocks: 2
; VGPRBlocks: 12
; NumSGPRsForWavesPerEU: 22
; NumVGPRsForWavesPerEU: 97
; Occupancy: 12
; WaveLimiterHint : 1
; COMPUTE_PGM_RSRC2:SCRATCH_EN: 0
; COMPUTE_PGM_RSRC2:USER_SGPR: 15
; COMPUTE_PGM_RSRC2:TRAP_HANDLER: 0
; COMPUTE_PGM_RSRC2:TGID_X_EN: 1
; COMPUTE_PGM_RSRC2:TGID_Y_EN: 0
; COMPUTE_PGM_RSRC2:TGID_Z_EN: 0
; COMPUTE_PGM_RSRC2:TIDIG_COMP_CNT: 0
	.text
	.p2alignl 7, 3214868480
	.fill 96, 4, 3214868480
	.type	__hip_cuid_d96700b88819600d,@object ; @__hip_cuid_d96700b88819600d
	.section	.bss,"aw",@nobits
	.globl	__hip_cuid_d96700b88819600d
__hip_cuid_d96700b88819600d:
	.byte	0                               ; 0x0
	.size	__hip_cuid_d96700b88819600d, 1

	.ident	"AMD clang version 19.0.0git (https://github.com/RadeonOpenCompute/llvm-project roc-6.4.0 25133 c7fe45cf4b819c5991fe208aaa96edf142730f1d)"
	.section	".note.GNU-stack","",@progbits
	.addrsig
	.addrsig_sym __hip_cuid_d96700b88819600d
	.amdgpu_metadata
---
amdhsa.kernels:
  - .args:
      - .actual_access:  read_only
        .address_space:  global
        .offset:         0
        .size:           8
        .value_kind:     global_buffer
      - .address_space:  global
        .offset:         8
        .size:           8
        .value_kind:     global_buffer
      - .actual_access:  read_only
        .address_space:  global
        .offset:         16
        .size:           8
        .value_kind:     global_buffer
      - .actual_access:  read_only
        .address_space:  global
        .offset:         24
        .size:           8
        .value_kind:     global_buffer
      - .offset:         32
        .size:           8
        .value_kind:     by_value
      - .actual_access:  read_only
        .address_space:  global
        .offset:         40
        .size:           8
        .value_kind:     global_buffer
      - .actual_access:  read_only
        .address_space:  global
        .offset:         48
        .size:           8
        .value_kind:     global_buffer
      - .offset:         56
        .size:           4
        .value_kind:     by_value
      - .actual_access:  read_only
        .address_space:  global
        .offset:         64
        .size:           8
        .value_kind:     global_buffer
      - .actual_access:  read_only
        .address_space:  global
        .offset:         72
        .size:           8
        .value_kind:     global_buffer
      - .address_space:  global
        .offset:         80
        .size:           8
        .value_kind:     global_buffer
    .group_segment_fixed_size: 0
    .kernarg_segment_align: 8
    .kernarg_segment_size: 88
    .language:       OpenCL C
    .language_version:
      - 2
      - 0
    .max_flat_workgroup_size: 200
    .name:           fft_rtc_fwd_len200_factors_2_5_10_2_wgs_200_tpt_20_dim2_sp_ip_CI_sbcc_twdbase8_3step_dirReg_intrinsicReadWrite
    .private_segment_fixed_size: 0
    .sgpr_count:     22
    .sgpr_spill_count: 0
    .symbol:         fft_rtc_fwd_len200_factors_2_5_10_2_wgs_200_tpt_20_dim2_sp_ip_CI_sbcc_twdbase8_3step_dirReg_intrinsicReadWrite.kd
    .uniform_work_group_size: 1
    .uses_dynamic_stack: false
    .vgpr_count:     97
    .vgpr_spill_count: 0
    .wavefront_size: 32
    .workgroup_processor_mode: 1
amdhsa.target:   amdgcn-amd-amdhsa--gfx1100
amdhsa.version:
  - 1
  - 2
...

	.end_amdgpu_metadata
